;; amdgpu-corpus repo=zjin-lcf/HeCBench kind=compiled arch=gfx1250 opt=O3
	.amdgcn_target "amdgcn-amd-amdhsa--gfx1250"
	.amdhsa_code_object_version 6
	.text
	.protected	_Z27base_elementwise_add_kernelPK6__halfS1_PS_m ; -- Begin function _Z27base_elementwise_add_kernelPK6__halfS1_PS_m
	.globl	_Z27base_elementwise_add_kernelPK6__halfS1_PS_m
	.p2align	8
	.type	_Z27base_elementwise_add_kernelPK6__halfS1_PS_m,@function
_Z27base_elementwise_add_kernelPK6__halfS1_PS_m: ; @_Z27base_elementwise_add_kernelPK6__halfS1_PS_m
; %bb.0:
	s_clause 0x1
	s_load_b32 s4, s[0:1], 0x2c
	s_load_b64 s[2:3], s[0:1], 0x18
	s_bfe_u32 s5, ttmp6, 0x4000c
	s_and_b32 s6, ttmp6, 15
	s_add_co_i32 s5, s5, 1
	s_getreg_b32 s7, hwreg(HW_REG_IB_STS2, 6, 4)
	s_mul_i32 s5, ttmp9, s5
	v_mov_b32_e32 v1, 0
	s_add_co_i32 s6, s6, s5
	s_wait_kmcnt 0x0
	s_and_b32 s4, s4, 0xffff
	s_cmp_eq_u32 s7, 0
	s_cselect_b32 s5, ttmp9, s6
	s_delay_alu instid0(SALU_CYCLE_1) | instskip(NEXT) | instid1(VALU_DEP_1)
	v_mad_nc_u64_u32 v[0:1], s4, s5, v[0:1]
	v_cmp_gt_u64_e32 vcc_lo, s[2:3], v[0:1]
	s_and_saveexec_b32 s2, vcc_lo
	s_cbranch_execz .LBB0_2
; %bb.1:
	s_load_b128 s[4:7], s[0:1], 0x0
	v_lshlrev_b64_e32 v[0:1], 1, v[0:1]
	s_wait_xcnt 0x0
	s_load_b64 s[0:1], s[0:1], 0x10
	s_wait_kmcnt 0x0
	s_delay_alu instid0(VALU_DEP_1)
	v_add_nc_u64_e32 v[2:3], s[4:5], v[0:1]
	v_add_nc_u64_e32 v[4:5], s[6:7], v[0:1]
	;; [unrolled: 1-line block ×3, first 2 shown]
	global_load_u16 v6, v[2:3], off
	global_load_u16 v7, v[4:5], off
	s_wait_loadcnt 0x0
	v_add_f16_e32 v2, v6, v7
	global_store_b16 v[0:1], v2, off
.LBB0_2:
	s_endpgm
	.section	.rodata,"a",@progbits
	.p2align	6, 0x0
	.amdhsa_kernel _Z27base_elementwise_add_kernelPK6__halfS1_PS_m
		.amdhsa_group_segment_fixed_size 0
		.amdhsa_private_segment_fixed_size 0
		.amdhsa_kernarg_size 288
		.amdhsa_user_sgpr_count 2
		.amdhsa_user_sgpr_dispatch_ptr 0
		.amdhsa_user_sgpr_queue_ptr 0
		.amdhsa_user_sgpr_kernarg_segment_ptr 1
		.amdhsa_user_sgpr_dispatch_id 0
		.amdhsa_user_sgpr_kernarg_preload_length 0
		.amdhsa_user_sgpr_kernarg_preload_offset 0
		.amdhsa_user_sgpr_private_segment_size 0
		.amdhsa_wavefront_size32 1
		.amdhsa_uses_dynamic_stack 0
		.amdhsa_enable_private_segment 0
		.amdhsa_system_sgpr_workgroup_id_x 1
		.amdhsa_system_sgpr_workgroup_id_y 0
		.amdhsa_system_sgpr_workgroup_id_z 0
		.amdhsa_system_sgpr_workgroup_info 0
		.amdhsa_system_vgpr_workitem_id 0
		.amdhsa_next_free_vgpr 8
		.amdhsa_next_free_sgpr 8
		.amdhsa_named_barrier_count 0
		.amdhsa_reserve_vcc 1
		.amdhsa_float_round_mode_32 0
		.amdhsa_float_round_mode_16_64 0
		.amdhsa_float_denorm_mode_32 3
		.amdhsa_float_denorm_mode_16_64 3
		.amdhsa_fp16_overflow 0
		.amdhsa_memory_ordered 1
		.amdhsa_forward_progress 1
		.amdhsa_inst_pref_size 2
		.amdhsa_round_robin_scheduling 0
		.amdhsa_exception_fp_ieee_invalid_op 0
		.amdhsa_exception_fp_denorm_src 0
		.amdhsa_exception_fp_ieee_div_zero 0
		.amdhsa_exception_fp_ieee_overflow 0
		.amdhsa_exception_fp_ieee_underflow 0
		.amdhsa_exception_fp_ieee_inexact 0
		.amdhsa_exception_int_div_zero 0
	.end_amdhsa_kernel
	.text
.Lfunc_end0:
	.size	_Z27base_elementwise_add_kernelPK6__halfS1_PS_m, .Lfunc_end0-_Z27base_elementwise_add_kernelPK6__halfS1_PS_m
                                        ; -- End function
	.set _Z27base_elementwise_add_kernelPK6__halfS1_PS_m.num_vgpr, 8
	.set _Z27base_elementwise_add_kernelPK6__halfS1_PS_m.num_agpr, 0
	.set _Z27base_elementwise_add_kernelPK6__halfS1_PS_m.numbered_sgpr, 8
	.set _Z27base_elementwise_add_kernelPK6__halfS1_PS_m.num_named_barrier, 0
	.set _Z27base_elementwise_add_kernelPK6__halfS1_PS_m.private_seg_size, 0
	.set _Z27base_elementwise_add_kernelPK6__halfS1_PS_m.uses_vcc, 1
	.set _Z27base_elementwise_add_kernelPK6__halfS1_PS_m.uses_flat_scratch, 0
	.set _Z27base_elementwise_add_kernelPK6__halfS1_PS_m.has_dyn_sized_stack, 0
	.set _Z27base_elementwise_add_kernelPK6__halfS1_PS_m.has_recursion, 0
	.set _Z27base_elementwise_add_kernelPK6__halfS1_PS_m.has_indirect_call, 0
	.section	.AMDGPU.csdata,"",@progbits
; Kernel info:
; codeLenInByte = 188
; TotalNumSgprs: 10
; NumVgprs: 8
; ScratchSize: 0
; MemoryBound: 0
; FloatMode: 240
; IeeeMode: 1
; LDSByteSize: 0 bytes/workgroup (compile time only)
; SGPRBlocks: 0
; VGPRBlocks: 0
; NumSGPRsForWavesPerEU: 10
; NumVGPRsForWavesPerEU: 8
; NamedBarCnt: 0
; Occupancy: 16
; WaveLimiterHint : 0
; COMPUTE_PGM_RSRC2:SCRATCH_EN: 0
; COMPUTE_PGM_RSRC2:USER_SGPR: 2
; COMPUTE_PGM_RSRC2:TRAP_HANDLER: 0
; COMPUTE_PGM_RSRC2:TGID_X_EN: 1
; COMPUTE_PGM_RSRC2:TGID_Y_EN: 0
; COMPUTE_PGM_RSRC2:TGID_Z_EN: 0
; COMPUTE_PGM_RSRC2:TIDIG_COMP_CNT: 0
	.text
	.protected	_Z33vectorized_elementwise_add_kernelPK6__halfS1_PS_m ; -- Begin function _Z33vectorized_elementwise_add_kernelPK6__halfS1_PS_m
	.globl	_Z33vectorized_elementwise_add_kernelPK6__halfS1_PS_m
	.p2align	8
	.type	_Z33vectorized_elementwise_add_kernelPK6__halfS1_PS_m,@function
_Z33vectorized_elementwise_add_kernelPK6__halfS1_PS_m: ; @_Z33vectorized_elementwise_add_kernelPK6__halfS1_PS_m
; %bb.0:
	s_load_b32 s2, s[0:1], 0x2c
	s_bfe_u32 s3, ttmp6, 0x4000c
	s_and_b32 s4, ttmp6, 15
	s_add_co_i32 s3, s3, 1
	s_getreg_b32 s5, hwreg(HW_REG_IB_STS2, 6, 4)
	s_mul_i32 s3, ttmp9, s3
	v_dual_mov_b32 v3, 0 :: v_dual_lshlrev_b32 v2, 3, v0
	s_add_co_i32 s4, s4, s3
	s_wait_kmcnt 0x0
	s_and_b32 s2, s2, 0xffff
	s_cmp_eq_u32 s5, 0
	s_cselect_b32 s12, ttmp9, s4
	s_load_b256 s[4:11], s[0:1], 0x0
	s_lshl_b32 s3, s12, 3
	s_wait_xcnt 0x0
	s_lshr_b32 s0, s12, 29
	v_mad_nc_u64_u32 v[2:3], s3, s2, v[2:3]
	s_mov_b32 s3, 0
	s_delay_alu instid0(VALU_DEP_1) | instskip(SKIP_2) | instid1(VALU_DEP_1)
	v_mad_u32 v3, s0, s2, v3
	s_mov_b32 s0, exec_lo
	s_wait_kmcnt 0x0
	v_sub_nc_u64_e32 v[4:5], s[10:11], v[2:3]
	s_delay_alu instid0(VALU_DEP_1)
	v_cmpx_lt_u64_e32 7, v[4:5]
	s_xor_b32 s0, exec_lo, s0
	s_cbranch_execz .LBB1_2
; %bb.1:
	v_lshlrev_b64_e32 v[8:9], 1, v[2:3]
	s_delay_alu instid0(VALU_DEP_1)
	v_add_nc_u64_e32 v[10:11], s[4:5], v[8:9]
	v_add_nc_u64_e32 v[12:13], s[6:7], v[8:9]
	;; [unrolled: 1-line block ×3, first 2 shown]
	global_load_b128 v[0:3], v[10:11], off
	global_load_b128 v[4:7], v[12:13], off
	s_wait_loadcnt 0x0
	v_pk_add_f16 v0, v0, v4
	v_pk_add_f16 v1, v1, v5
	;; [unrolled: 1-line block ×4, first 2 shown]
                                        ; implicit-def: $vgpr4_vgpr5
	global_store_b128 v[8:9], v[0:3], off
                                        ; implicit-def: $vgpr2_vgpr3
                                        ; implicit-def: $vgpr0
.LBB1_2:
	s_wait_xcnt 0x0
	s_and_not1_saveexec_b32 s0, s0
	s_cbranch_execz .LBB1_11
; %bb.3:
	s_mov_b32 s0, exec_lo
	v_cmpx_gt_u64_e64 s[10:11], v[2:3]
	s_cbranch_execz .LBB1_11
; %bb.4:
	s_mov_b32 s0, -1
	s_mov_b32 s14, exec_lo
	v_cmpx_lt_u64_e32 3, v[4:5]
	s_cbranch_execz .LBB1_8
; %bb.5:
	v_dual_mov_b32 v1, 0 :: v_dual_lshlrev_b32 v0, 4, v0
	s_mov_b32 s13, s3
	s_and_b64 s[0:1], s[10:11], 3
	s_mul_u64 s[2:3], s[12:13], s[2:3]
	s_delay_alu instid0(VALU_DEP_1) | instid1(SALU_CYCLE_1)
	v_lshl_add_u64 v[8:9], s[2:3], 4, v[0:1]
	v_sub_nc_u64_e64 v[0:1], v[4:5], s[0:1]
	s_mov_b32 s2, 0
	s_delay_alu instid0(VALU_DEP_2) | instskip(SKIP_2) | instid1(VALU_DEP_4)
	v_add_nc_u64_e32 v[4:5], s[8:9], v[8:9]
	v_add_nc_u64_e32 v[6:7], s[6:7], v[8:9]
	;; [unrolled: 1-line block ×3, first 2 shown]
	v_mov_b64_e32 v[10:11], v[0:1]
.LBB1_6:                                ; =>This Inner Loop Header: Depth=1
	global_load_b64 v[12:13], v[8:9], off
	global_load_b64 v[14:15], v[6:7], off
	v_add_nc_u64_e32 v[10:11], -4, v[10:11]
	s_wait_xcnt 0x0
	v_add_nc_u64_e32 v[6:7], 8, v[6:7]
	v_add_nc_u64_e32 v[8:9], 8, v[8:9]
	s_delay_alu instid0(VALU_DEP_3)
	v_cmp_eq_u64_e32 vcc_lo, 0, v[10:11]
	s_or_b32 s2, vcc_lo, s2
	s_wait_loadcnt 0x0
	v_pk_add_f16 v13, v13, v15
	v_pk_add_f16 v12, v12, v14
	global_store_b64 v[4:5], v[12:13], off
	s_wait_xcnt 0x0
	v_add_nc_u64_e32 v[4:5], 8, v[4:5]
	s_and_not1_b32 exec_lo, exec_lo, s2
	s_cbranch_execnz .LBB1_6
; %bb.7:
	s_or_b32 exec_lo, exec_lo, s2
	s_cmp_lg_u64 s[0:1], 0
	v_or_b32_e32 v3, v3, v1
	v_or_b32_e32 v2, v2, v0
	s_cselect_b32 s0, -1, 0
	s_delay_alu instid0(SALU_CYCLE_1)
	s_or_not1_b32 s0, s0, exec_lo
.LBB1_8:
	s_or_b32 exec_lo, exec_lo, s14
	s_delay_alu instid0(SALU_CYCLE_1)
	s_and_b32 exec_lo, exec_lo, s0
	s_cbranch_execz .LBB1_11
; %bb.9:
	v_lshlrev_b64_e32 v[6:7], 1, v[2:3]
	s_mov_b32 s0, 0
	s_delay_alu instid0(VALU_DEP_1)
	v_add_nc_u64_e32 v[0:1], s[8:9], v[6:7]
	v_add_nc_u64_e32 v[4:5], s[6:7], v[6:7]
	;; [unrolled: 1-line block ×3, first 2 shown]
.LBB1_10:                               ; =>This Inner Loop Header: Depth=1
	global_load_u16 v8, v[6:7], off
	global_load_u16 v9, v[4:5], off
	v_add_nc_u64_e32 v[2:3], 1, v[2:3]
	s_wait_xcnt 0x0
	v_add_nc_u64_e32 v[4:5], 2, v[4:5]
	v_add_nc_u64_e32 v[6:7], 2, v[6:7]
	s_delay_alu instid0(VALU_DEP_3)
	v_cmp_le_u64_e32 vcc_lo, s[10:11], v[2:3]
	s_or_b32 s0, vcc_lo, s0
	s_wait_loadcnt 0x0
	v_add_f16_e32 v8, v8, v9
	global_store_b16 v[0:1], v8, off
	s_wait_xcnt 0x0
	v_add_nc_u64_e32 v[0:1], 2, v[0:1]
	s_and_not1_b32 exec_lo, exec_lo, s0
	s_cbranch_execnz .LBB1_10
.LBB1_11:
	s_endpgm
	.section	.rodata,"a",@progbits
	.p2align	6, 0x0
	.amdhsa_kernel _Z33vectorized_elementwise_add_kernelPK6__halfS1_PS_m
		.amdhsa_group_segment_fixed_size 0
		.amdhsa_private_segment_fixed_size 0
		.amdhsa_kernarg_size 288
		.amdhsa_user_sgpr_count 2
		.amdhsa_user_sgpr_dispatch_ptr 0
		.amdhsa_user_sgpr_queue_ptr 0
		.amdhsa_user_sgpr_kernarg_segment_ptr 1
		.amdhsa_user_sgpr_dispatch_id 0
		.amdhsa_user_sgpr_kernarg_preload_length 0
		.amdhsa_user_sgpr_kernarg_preload_offset 0
		.amdhsa_user_sgpr_private_segment_size 0
		.amdhsa_wavefront_size32 1
		.amdhsa_uses_dynamic_stack 0
		.amdhsa_enable_private_segment 0
		.amdhsa_system_sgpr_workgroup_id_x 1
		.amdhsa_system_sgpr_workgroup_id_y 0
		.amdhsa_system_sgpr_workgroup_id_z 0
		.amdhsa_system_sgpr_workgroup_info 0
		.amdhsa_system_vgpr_workitem_id 0
		.amdhsa_next_free_vgpr 16
		.amdhsa_next_free_sgpr 15
		.amdhsa_named_barrier_count 0
		.amdhsa_reserve_vcc 1
		.amdhsa_float_round_mode_32 0
		.amdhsa_float_round_mode_16_64 0
		.amdhsa_float_denorm_mode_32 3
		.amdhsa_float_denorm_mode_16_64 3
		.amdhsa_fp16_overflow 0
		.amdhsa_memory_ordered 1
		.amdhsa_forward_progress 1
		.amdhsa_inst_pref_size 5
		.amdhsa_round_robin_scheduling 0
		.amdhsa_exception_fp_ieee_invalid_op 0
		.amdhsa_exception_fp_denorm_src 0
		.amdhsa_exception_fp_ieee_div_zero 0
		.amdhsa_exception_fp_ieee_overflow 0
		.amdhsa_exception_fp_ieee_underflow 0
		.amdhsa_exception_fp_ieee_inexact 0
		.amdhsa_exception_int_div_zero 0
	.end_amdhsa_kernel
	.text
.Lfunc_end1:
	.size	_Z33vectorized_elementwise_add_kernelPK6__halfS1_PS_m, .Lfunc_end1-_Z33vectorized_elementwise_add_kernelPK6__halfS1_PS_m
                                        ; -- End function
	.set _Z33vectorized_elementwise_add_kernelPK6__halfS1_PS_m.num_vgpr, 16
	.set _Z33vectorized_elementwise_add_kernelPK6__halfS1_PS_m.num_agpr, 0
	.set _Z33vectorized_elementwise_add_kernelPK6__halfS1_PS_m.numbered_sgpr, 15
	.set _Z33vectorized_elementwise_add_kernelPK6__halfS1_PS_m.num_named_barrier, 0
	.set _Z33vectorized_elementwise_add_kernelPK6__halfS1_PS_m.private_seg_size, 0
	.set _Z33vectorized_elementwise_add_kernelPK6__halfS1_PS_m.uses_vcc, 1
	.set _Z33vectorized_elementwise_add_kernelPK6__halfS1_PS_m.uses_flat_scratch, 0
	.set _Z33vectorized_elementwise_add_kernelPK6__halfS1_PS_m.has_dyn_sized_stack, 0
	.set _Z33vectorized_elementwise_add_kernelPK6__halfS1_PS_m.has_recursion, 0
	.set _Z33vectorized_elementwise_add_kernelPK6__halfS1_PS_m.has_indirect_call, 0
	.section	.AMDGPU.csdata,"",@progbits
; Kernel info:
; codeLenInByte = 596
; TotalNumSgprs: 17
; NumVgprs: 16
; ScratchSize: 0
; MemoryBound: 0
; FloatMode: 240
; IeeeMode: 1
; LDSByteSize: 0 bytes/workgroup (compile time only)
; SGPRBlocks: 0
; VGPRBlocks: 0
; NumSGPRsForWavesPerEU: 17
; NumVGPRsForWavesPerEU: 16
; NamedBarCnt: 0
; Occupancy: 16
; WaveLimiterHint : 0
; COMPUTE_PGM_RSRC2:SCRATCH_EN: 0
; COMPUTE_PGM_RSRC2:USER_SGPR: 2
; COMPUTE_PGM_RSRC2:TRAP_HANDLER: 0
; COMPUTE_PGM_RSRC2:TGID_X_EN: 1
; COMPUTE_PGM_RSRC2:TGID_Y_EN: 0
; COMPUTE_PGM_RSRC2:TGID_Z_EN: 0
; COMPUTE_PGM_RSRC2:TIDIG_COMP_CNT: 0
	.section	.text._Z25tv_elementwise_add_kernelILi512EEvPK6__halfS2_PS0_ii,"axG",@progbits,_Z25tv_elementwise_add_kernelILi512EEvPK6__halfS2_PS0_ii,comdat
	.protected	_Z25tv_elementwise_add_kernelILi512EEvPK6__halfS2_PS0_ii ; -- Begin function _Z25tv_elementwise_add_kernelILi512EEvPK6__halfS2_PS0_ii
	.globl	_Z25tv_elementwise_add_kernelILi512EEvPK6__halfS2_PS0_ii
	.p2align	8
	.type	_Z25tv_elementwise_add_kernelILi512EEvPK6__halfS2_PS0_ii,@function
_Z25tv_elementwise_add_kernelILi512EEvPK6__halfS2_PS0_ii: ; @_Z25tv_elementwise_add_kernelILi512EEvPK6__halfS2_PS0_ii
; %bb.0:
	s_bfe_u32 s3, ttmp6, 0x4000c
	s_bfe_u32 s4, ttmp6, 0x40010
	s_add_co_i32 s3, s3, 1
	s_and_b32 s2, ttmp6, 15
	s_mul_i32 s3, ttmp9, s3
	s_add_co_i32 s4, s4, 1
	s_load_b32 s8, s[0:1], 0x1c
	v_dual_lshrrev_b32 v1, 3, v0 :: v_dual_lshlrev_b32 v0, 3, v0
	s_add_co_i32 s2, s2, s3
	s_mul_i32 s3, ttmp7, s4
	s_bfe_u32 s4, ttmp6, 0x40004
	s_getreg_b32 s5, hwreg(HW_REG_IB_STS2, 6, 4)
	s_add_co_i32 s4, s4, s3
	s_cmp_eq_u32 s5, 0
	v_and_b32_e32 v1, 0x7c, v1
	s_cselect_b32 s2, ttmp9, s2
	s_cselect_b32 s3, ttmp7, s4
	s_lshl_b32 s2, s2, 9
	s_load_b128 s[4:7], s[0:1], 0x0
	v_and_or_b32 v0, 0xf8, v0, s2
	v_lshl_add_u32 v6, s3, 4, v1
	s_wait_xcnt 0x0
	s_load_b64 s[0:1], s[0:1], 0x10
	s_delay_alu instid0(VALU_DEP_1) | instskip(SKIP_3) | instid1(VALU_DEP_3)
	v_dual_ashrrev_i32 v1, 31, v0 :: v_dual_bitop2_b32 v4, 1, v6 bitop3:0x54
	v_or_b32_e32 v7, 2, v6
	v_or_b32_e32 v8, 3, v6
	s_wait_kmcnt 0x0
	v_mad_nc_i64_i32 v[2:3], v6, s8, v[0:1]
	v_mad_nc_i64_i32 v[4:5], v4, s8, v[0:1]
	;; [unrolled: 1-line block ×4, first 2 shown]
	s_delay_alu instid0(VALU_DEP_4) | instskip(NEXT) | instid1(VALU_DEP_4)
	v_lshlrev_b64_e32 v[32:33], 1, v[2:3]
	v_lshlrev_b64_e32 v[34:35], 1, v[4:5]
	s_delay_alu instid0(VALU_DEP_4) | instskip(NEXT) | instid1(VALU_DEP_4)
	v_lshlrev_b64_e32 v[36:37], 1, v[6:7]
	v_lshlrev_b64_e32 v[38:39], 1, v[0:1]
	s_delay_alu instid0(VALU_DEP_4)
	v_add_nc_u64_e32 v[8:9], s[4:5], v[32:33]
	v_add_nc_u64_e32 v[10:11], s[6:7], v[32:33]
	;; [unrolled: 1-line block ×8, first 2 shown]
	global_load_b128 v[0:3], v[8:9], off
	global_load_b128 v[4:7], v[10:11], off
	;; [unrolled: 1-line block ×8, first 2 shown]
	v_add_nc_u64_e32 v[32:33], s[0:1], v[32:33]
	v_add_nc_u64_e32 v[34:35], s[0:1], v[34:35]
	;; [unrolled: 1-line block ×4, first 2 shown]
	s_wait_loadcnt 0x6
	v_pk_add_f16 v0, v0, v4
	v_pk_add_f16 v1, v1, v5
	v_pk_add_f16 v2, v2, v6
	v_pk_add_f16 v3, v3, v7
	s_wait_loadcnt 0x4
	v_pk_add_f16 v4, v8, v12
	v_pk_add_f16 v5, v9, v13
	v_pk_add_f16 v6, v10, v14
	v_pk_add_f16 v7, v11, v15
	s_wait_loadcnt 0x2
	v_pk_add_f16 v8, v16, v20
	v_pk_add_f16 v9, v17, v21
	v_pk_add_f16 v10, v18, v22
	v_pk_add_f16 v11, v19, v23
	s_wait_loadcnt 0x0
	v_pk_add_f16 v12, v24, v28
	v_pk_add_f16 v13, v25, v29
	v_pk_add_f16 v14, v26, v30
	v_pk_add_f16 v15, v27, v31
	s_clause 0x3
	global_store_b128 v[32:33], v[0:3], off
	global_store_b128 v[34:35], v[4:7], off
	;; [unrolled: 1-line block ×4, first 2 shown]
	s_endpgm
	.section	.rodata,"a",@progbits
	.p2align	6, 0x0
	.amdhsa_kernel _Z25tv_elementwise_add_kernelILi512EEvPK6__halfS2_PS0_ii
		.amdhsa_group_segment_fixed_size 0
		.amdhsa_private_segment_fixed_size 0
		.amdhsa_kernarg_size 32
		.amdhsa_user_sgpr_count 2
		.amdhsa_user_sgpr_dispatch_ptr 0
		.amdhsa_user_sgpr_queue_ptr 0
		.amdhsa_user_sgpr_kernarg_segment_ptr 1
		.amdhsa_user_sgpr_dispatch_id 0
		.amdhsa_user_sgpr_kernarg_preload_length 0
		.amdhsa_user_sgpr_kernarg_preload_offset 0
		.amdhsa_user_sgpr_private_segment_size 0
		.amdhsa_wavefront_size32 1
		.amdhsa_uses_dynamic_stack 0
		.amdhsa_enable_private_segment 0
		.amdhsa_system_sgpr_workgroup_id_x 1
		.amdhsa_system_sgpr_workgroup_id_y 1
		.amdhsa_system_sgpr_workgroup_id_z 0
		.amdhsa_system_sgpr_workgroup_info 0
		.amdhsa_system_vgpr_workitem_id 0
		.amdhsa_next_free_vgpr 48
		.amdhsa_next_free_sgpr 9
		.amdhsa_named_barrier_count 0
		.amdhsa_reserve_vcc 0
		.amdhsa_float_round_mode_32 0
		.amdhsa_float_round_mode_16_64 0
		.amdhsa_float_denorm_mode_32 3
		.amdhsa_float_denorm_mode_16_64 3
		.amdhsa_fp16_overflow 0
		.amdhsa_memory_ordered 1
		.amdhsa_forward_progress 1
		.amdhsa_inst_pref_size 5
		.amdhsa_round_robin_scheduling 0
		.amdhsa_exception_fp_ieee_invalid_op 0
		.amdhsa_exception_fp_denorm_src 0
		.amdhsa_exception_fp_ieee_div_zero 0
		.amdhsa_exception_fp_ieee_overflow 0
		.amdhsa_exception_fp_ieee_underflow 0
		.amdhsa_exception_fp_ieee_inexact 0
		.amdhsa_exception_int_div_zero 0
	.end_amdhsa_kernel
	.section	.text._Z25tv_elementwise_add_kernelILi512EEvPK6__halfS2_PS0_ii,"axG",@progbits,_Z25tv_elementwise_add_kernelILi512EEvPK6__halfS2_PS0_ii,comdat
.Lfunc_end2:
	.size	_Z25tv_elementwise_add_kernelILi512EEvPK6__halfS2_PS0_ii, .Lfunc_end2-_Z25tv_elementwise_add_kernelILi512EEvPK6__halfS2_PS0_ii
                                        ; -- End function
	.set _Z25tv_elementwise_add_kernelILi512EEvPK6__halfS2_PS0_ii.num_vgpr, 48
	.set _Z25tv_elementwise_add_kernelILi512EEvPK6__halfS2_PS0_ii.num_agpr, 0
	.set _Z25tv_elementwise_add_kernelILi512EEvPK6__halfS2_PS0_ii.numbered_sgpr, 9
	.set _Z25tv_elementwise_add_kernelILi512EEvPK6__halfS2_PS0_ii.num_named_barrier, 0
	.set _Z25tv_elementwise_add_kernelILi512EEvPK6__halfS2_PS0_ii.private_seg_size, 0
	.set _Z25tv_elementwise_add_kernelILi512EEvPK6__halfS2_PS0_ii.uses_vcc, 0
	.set _Z25tv_elementwise_add_kernelILi512EEvPK6__halfS2_PS0_ii.uses_flat_scratch, 0
	.set _Z25tv_elementwise_add_kernelILi512EEvPK6__halfS2_PS0_ii.has_dyn_sized_stack, 0
	.set _Z25tv_elementwise_add_kernelILi512EEvPK6__halfS2_PS0_ii.has_recursion, 0
	.set _Z25tv_elementwise_add_kernelILi512EEvPK6__halfS2_PS0_ii.has_indirect_call, 0
	.section	.AMDGPU.csdata,"",@progbits
; Kernel info:
; codeLenInByte = 572
; TotalNumSgprs: 9
; NumVgprs: 48
; ScratchSize: 0
; MemoryBound: 0
; FloatMode: 240
; IeeeMode: 1
; LDSByteSize: 0 bytes/workgroup (compile time only)
; SGPRBlocks: 0
; VGPRBlocks: 2
; NumSGPRsForWavesPerEU: 9
; NumVGPRsForWavesPerEU: 48
; NamedBarCnt: 0
; Occupancy: 16
; WaveLimiterHint : 0
; COMPUTE_PGM_RSRC2:SCRATCH_EN: 0
; COMPUTE_PGM_RSRC2:USER_SGPR: 2
; COMPUTE_PGM_RSRC2:TRAP_HANDLER: 0
; COMPUTE_PGM_RSRC2:TGID_X_EN: 1
; COMPUTE_PGM_RSRC2:TGID_Y_EN: 1
; COMPUTE_PGM_RSRC2:TGID_Z_EN: 0
; COMPUTE_PGM_RSRC2:TIDIG_COMP_CNT: 0
	.section	.text._Z25tv_elementwise_add_kernelILi256EEvPK6__halfS2_PS0_ii,"axG",@progbits,_Z25tv_elementwise_add_kernelILi256EEvPK6__halfS2_PS0_ii,comdat
	.protected	_Z25tv_elementwise_add_kernelILi256EEvPK6__halfS2_PS0_ii ; -- Begin function _Z25tv_elementwise_add_kernelILi256EEvPK6__halfS2_PS0_ii
	.globl	_Z25tv_elementwise_add_kernelILi256EEvPK6__halfS2_PS0_ii
	.p2align	8
	.type	_Z25tv_elementwise_add_kernelILi256EEvPK6__halfS2_PS0_ii,@function
_Z25tv_elementwise_add_kernelILi256EEvPK6__halfS2_PS0_ii: ; @_Z25tv_elementwise_add_kernelILi256EEvPK6__halfS2_PS0_ii
; %bb.0:
	s_bfe_u32 s3, ttmp6, 0x4000c
	s_bfe_u32 s4, ttmp6, 0x40010
	s_add_co_i32 s3, s3, 1
	s_and_b32 s2, ttmp6, 15
	s_mul_i32 s3, ttmp9, s3
	s_add_co_i32 s4, s4, 1
	s_load_b32 s8, s[0:1], 0x1c
	v_dual_lshrrev_b32 v1, 3, v0 :: v_dual_lshlrev_b32 v0, 3, v0
	s_add_co_i32 s2, s2, s3
	s_mul_i32 s3, ttmp7, s4
	s_bfe_u32 s4, ttmp6, 0x40004
	s_getreg_b32 s5, hwreg(HW_REG_IB_STS2, 6, 4)
	s_add_co_i32 s4, s4, s3
	s_cmp_eq_u32 s5, 0
	v_and_b32_e32 v1, 0x7c, v1
	s_cselect_b32 s2, ttmp9, s2
	s_cselect_b32 s3, ttmp7, s4
	s_lshl_b32 s2, s2, 8
	s_load_b128 s[4:7], s[0:1], 0x0
	v_and_or_b32 v0, 0xf8, v0, s2
	v_lshl_add_u32 v6, s3, 4, v1
	s_wait_xcnt 0x0
	s_load_b64 s[0:1], s[0:1], 0x10
	s_delay_alu instid0(VALU_DEP_1) | instskip(SKIP_3) | instid1(VALU_DEP_3)
	v_dual_ashrrev_i32 v1, 31, v0 :: v_dual_bitop2_b32 v4, 1, v6 bitop3:0x54
	v_or_b32_e32 v7, 2, v6
	v_or_b32_e32 v8, 3, v6
	s_wait_kmcnt 0x0
	v_mad_nc_i64_i32 v[2:3], v6, s8, v[0:1]
	v_mad_nc_i64_i32 v[4:5], v4, s8, v[0:1]
	v_mad_nc_i64_i32 v[6:7], v7, s8, v[0:1]
	v_mad_nc_i64_i32 v[0:1], v8, s8, v[0:1]
	s_delay_alu instid0(VALU_DEP_4) | instskip(NEXT) | instid1(VALU_DEP_4)
	v_lshlrev_b64_e32 v[32:33], 1, v[2:3]
	v_lshlrev_b64_e32 v[34:35], 1, v[4:5]
	s_delay_alu instid0(VALU_DEP_4) | instskip(NEXT) | instid1(VALU_DEP_4)
	v_lshlrev_b64_e32 v[36:37], 1, v[6:7]
	v_lshlrev_b64_e32 v[38:39], 1, v[0:1]
	s_delay_alu instid0(VALU_DEP_4)
	v_add_nc_u64_e32 v[8:9], s[4:5], v[32:33]
	v_add_nc_u64_e32 v[10:11], s[6:7], v[32:33]
	;; [unrolled: 1-line block ×8, first 2 shown]
	global_load_b128 v[0:3], v[8:9], off
	global_load_b128 v[4:7], v[10:11], off
	;; [unrolled: 1-line block ×8, first 2 shown]
	v_add_nc_u64_e32 v[32:33], s[0:1], v[32:33]
	v_add_nc_u64_e32 v[34:35], s[0:1], v[34:35]
	v_add_nc_u64_e32 v[36:37], s[0:1], v[36:37]
	v_add_nc_u64_e32 v[38:39], s[0:1], v[38:39]
	s_wait_loadcnt 0x6
	v_pk_add_f16 v0, v0, v4
	v_pk_add_f16 v1, v1, v5
	v_pk_add_f16 v2, v2, v6
	v_pk_add_f16 v3, v3, v7
	s_wait_loadcnt 0x4
	v_pk_add_f16 v4, v8, v12
	v_pk_add_f16 v5, v9, v13
	v_pk_add_f16 v6, v10, v14
	v_pk_add_f16 v7, v11, v15
	;; [unrolled: 5-line block ×4, first 2 shown]
	s_clause 0x3
	global_store_b128 v[32:33], v[0:3], off
	global_store_b128 v[34:35], v[4:7], off
	global_store_b128 v[36:37], v[8:11], off
	global_store_b128 v[38:39], v[12:15], off
	s_endpgm
	.section	.rodata,"a",@progbits
	.p2align	6, 0x0
	.amdhsa_kernel _Z25tv_elementwise_add_kernelILi256EEvPK6__halfS2_PS0_ii
		.amdhsa_group_segment_fixed_size 0
		.amdhsa_private_segment_fixed_size 0
		.amdhsa_kernarg_size 32
		.amdhsa_user_sgpr_count 2
		.amdhsa_user_sgpr_dispatch_ptr 0
		.amdhsa_user_sgpr_queue_ptr 0
		.amdhsa_user_sgpr_kernarg_segment_ptr 1
		.amdhsa_user_sgpr_dispatch_id 0
		.amdhsa_user_sgpr_kernarg_preload_length 0
		.amdhsa_user_sgpr_kernarg_preload_offset 0
		.amdhsa_user_sgpr_private_segment_size 0
		.amdhsa_wavefront_size32 1
		.amdhsa_uses_dynamic_stack 0
		.amdhsa_enable_private_segment 0
		.amdhsa_system_sgpr_workgroup_id_x 1
		.amdhsa_system_sgpr_workgroup_id_y 1
		.amdhsa_system_sgpr_workgroup_id_z 0
		.amdhsa_system_sgpr_workgroup_info 0
		.amdhsa_system_vgpr_workitem_id 0
		.amdhsa_next_free_vgpr 48
		.amdhsa_next_free_sgpr 9
		.amdhsa_named_barrier_count 0
		.amdhsa_reserve_vcc 0
		.amdhsa_float_round_mode_32 0
		.amdhsa_float_round_mode_16_64 0
		.amdhsa_float_denorm_mode_32 3
		.amdhsa_float_denorm_mode_16_64 3
		.amdhsa_fp16_overflow 0
		.amdhsa_memory_ordered 1
		.amdhsa_forward_progress 1
		.amdhsa_inst_pref_size 5
		.amdhsa_round_robin_scheduling 0
		.amdhsa_exception_fp_ieee_invalid_op 0
		.amdhsa_exception_fp_denorm_src 0
		.amdhsa_exception_fp_ieee_div_zero 0
		.amdhsa_exception_fp_ieee_overflow 0
		.amdhsa_exception_fp_ieee_underflow 0
		.amdhsa_exception_fp_ieee_inexact 0
		.amdhsa_exception_int_div_zero 0
	.end_amdhsa_kernel
	.section	.text._Z25tv_elementwise_add_kernelILi256EEvPK6__halfS2_PS0_ii,"axG",@progbits,_Z25tv_elementwise_add_kernelILi256EEvPK6__halfS2_PS0_ii,comdat
.Lfunc_end3:
	.size	_Z25tv_elementwise_add_kernelILi256EEvPK6__halfS2_PS0_ii, .Lfunc_end3-_Z25tv_elementwise_add_kernelILi256EEvPK6__halfS2_PS0_ii
                                        ; -- End function
	.set _Z25tv_elementwise_add_kernelILi256EEvPK6__halfS2_PS0_ii.num_vgpr, 48
	.set _Z25tv_elementwise_add_kernelILi256EEvPK6__halfS2_PS0_ii.num_agpr, 0
	.set _Z25tv_elementwise_add_kernelILi256EEvPK6__halfS2_PS0_ii.numbered_sgpr, 9
	.set _Z25tv_elementwise_add_kernelILi256EEvPK6__halfS2_PS0_ii.num_named_barrier, 0
	.set _Z25tv_elementwise_add_kernelILi256EEvPK6__halfS2_PS0_ii.private_seg_size, 0
	.set _Z25tv_elementwise_add_kernelILi256EEvPK6__halfS2_PS0_ii.uses_vcc, 0
	.set _Z25tv_elementwise_add_kernelILi256EEvPK6__halfS2_PS0_ii.uses_flat_scratch, 0
	.set _Z25tv_elementwise_add_kernelILi256EEvPK6__halfS2_PS0_ii.has_dyn_sized_stack, 0
	.set _Z25tv_elementwise_add_kernelILi256EEvPK6__halfS2_PS0_ii.has_recursion, 0
	.set _Z25tv_elementwise_add_kernelILi256EEvPK6__halfS2_PS0_ii.has_indirect_call, 0
	.section	.AMDGPU.csdata,"",@progbits
; Kernel info:
; codeLenInByte = 572
; TotalNumSgprs: 9
; NumVgprs: 48
; ScratchSize: 0
; MemoryBound: 0
; FloatMode: 240
; IeeeMode: 1
; LDSByteSize: 0 bytes/workgroup (compile time only)
; SGPRBlocks: 0
; VGPRBlocks: 2
; NumSGPRsForWavesPerEU: 9
; NumVGPRsForWavesPerEU: 48
; NamedBarCnt: 0
; Occupancy: 16
; WaveLimiterHint : 0
; COMPUTE_PGM_RSRC2:SCRATCH_EN: 0
; COMPUTE_PGM_RSRC2:USER_SGPR: 2
; COMPUTE_PGM_RSRC2:TRAP_HANDLER: 0
; COMPUTE_PGM_RSRC2:TGID_X_EN: 1
; COMPUTE_PGM_RSRC2:TGID_Y_EN: 1
; COMPUTE_PGM_RSRC2:TGID_Z_EN: 0
; COMPUTE_PGM_RSRC2:TIDIG_COMP_CNT: 0
	.text
	.p2alignl 7, 3214868480
	.fill 96, 4, 3214868480
	.section	.AMDGPU.gpr_maximums,"",@progbits
	.set amdgpu.max_num_vgpr, 0
	.set amdgpu.max_num_agpr, 0
	.set amdgpu.max_num_sgpr, 0
	.text
	.type	__hip_cuid_ebcd85bef1c90e5a,@object ; @__hip_cuid_ebcd85bef1c90e5a
	.section	.bss,"aw",@nobits
	.globl	__hip_cuid_ebcd85bef1c90e5a
__hip_cuid_ebcd85bef1c90e5a:
	.byte	0                               ; 0x0
	.size	__hip_cuid_ebcd85bef1c90e5a, 1

	.ident	"AMD clang version 22.0.0git (https://github.com/RadeonOpenCompute/llvm-project roc-7.2.4 26084 f58b06dce1f9c15707c5f808fd002e18c2accf7e)"
	.section	".note.GNU-stack","",@progbits
	.addrsig
	.addrsig_sym __hip_cuid_ebcd85bef1c90e5a
	.amdgpu_metadata
---
amdhsa.kernels:
  - .args:
      - .actual_access:  read_only
        .address_space:  global
        .offset:         0
        .size:           8
        .value_kind:     global_buffer
      - .actual_access:  read_only
        .address_space:  global
        .offset:         8
        .size:           8
        .value_kind:     global_buffer
      - .actual_access:  write_only
        .address_space:  global
        .offset:         16
        .size:           8
        .value_kind:     global_buffer
      - .offset:         24
        .size:           8
        .value_kind:     by_value
      - .offset:         32
        .size:           4
        .value_kind:     hidden_block_count_x
      - .offset:         36
        .size:           4
        .value_kind:     hidden_block_count_y
      - .offset:         40
        .size:           4
        .value_kind:     hidden_block_count_z
      - .offset:         44
        .size:           2
        .value_kind:     hidden_group_size_x
      - .offset:         46
        .size:           2
        .value_kind:     hidden_group_size_y
      - .offset:         48
        .size:           2
        .value_kind:     hidden_group_size_z
      - .offset:         50
        .size:           2
        .value_kind:     hidden_remainder_x
      - .offset:         52
        .size:           2
        .value_kind:     hidden_remainder_y
      - .offset:         54
        .size:           2
        .value_kind:     hidden_remainder_z
      - .offset:         72
        .size:           8
        .value_kind:     hidden_global_offset_x
      - .offset:         80
        .size:           8
        .value_kind:     hidden_global_offset_y
      - .offset:         88
        .size:           8
        .value_kind:     hidden_global_offset_z
      - .offset:         96
        .size:           2
        .value_kind:     hidden_grid_dims
    .group_segment_fixed_size: 0
    .kernarg_segment_align: 8
    .kernarg_segment_size: 288
    .language:       OpenCL C
    .language_version:
      - 2
      - 0
    .max_flat_workgroup_size: 1024
    .name:           _Z27base_elementwise_add_kernelPK6__halfS1_PS_m
    .private_segment_fixed_size: 0
    .sgpr_count:     10
    .sgpr_spill_count: 0
    .symbol:         _Z27base_elementwise_add_kernelPK6__halfS1_PS_m.kd
    .uniform_work_group_size: 1
    .uses_dynamic_stack: false
    .vgpr_count:     8
    .vgpr_spill_count: 0
    .wavefront_size: 32
  - .args:
      - .actual_access:  read_only
        .address_space:  global
        .offset:         0
        .size:           8
        .value_kind:     global_buffer
      - .actual_access:  read_only
        .address_space:  global
        .offset:         8
        .size:           8
        .value_kind:     global_buffer
      - .actual_access:  write_only
        .address_space:  global
        .offset:         16
        .size:           8
        .value_kind:     global_buffer
      - .offset:         24
        .size:           8
        .value_kind:     by_value
      - .offset:         32
        .size:           4
        .value_kind:     hidden_block_count_x
      - .offset:         36
        .size:           4
        .value_kind:     hidden_block_count_y
      - .offset:         40
        .size:           4
        .value_kind:     hidden_block_count_z
      - .offset:         44
        .size:           2
        .value_kind:     hidden_group_size_x
      - .offset:         46
        .size:           2
        .value_kind:     hidden_group_size_y
      - .offset:         48
        .size:           2
        .value_kind:     hidden_group_size_z
      - .offset:         50
        .size:           2
        .value_kind:     hidden_remainder_x
      - .offset:         52
        .size:           2
        .value_kind:     hidden_remainder_y
      - .offset:         54
        .size:           2
        .value_kind:     hidden_remainder_z
      - .offset:         72
        .size:           8
        .value_kind:     hidden_global_offset_x
      - .offset:         80
        .size:           8
        .value_kind:     hidden_global_offset_y
      - .offset:         88
        .size:           8
        .value_kind:     hidden_global_offset_z
      - .offset:         96
        .size:           2
        .value_kind:     hidden_grid_dims
    .group_segment_fixed_size: 0
    .kernarg_segment_align: 8
    .kernarg_segment_size: 288
    .language:       OpenCL C
    .language_version:
      - 2
      - 0
    .max_flat_workgroup_size: 1024
    .name:           _Z33vectorized_elementwise_add_kernelPK6__halfS1_PS_m
    .private_segment_fixed_size: 0
    .sgpr_count:     17
    .sgpr_spill_count: 0
    .symbol:         _Z33vectorized_elementwise_add_kernelPK6__halfS1_PS_m.kd
    .uniform_work_group_size: 1
    .uses_dynamic_stack: false
    .vgpr_count:     16
    .vgpr_spill_count: 0
    .wavefront_size: 32
  - .args:
      - .actual_access:  read_only
        .address_space:  global
        .offset:         0
        .size:           8
        .value_kind:     global_buffer
      - .actual_access:  read_only
        .address_space:  global
        .offset:         8
        .size:           8
        .value_kind:     global_buffer
      - .actual_access:  write_only
        .address_space:  global
        .offset:         16
        .size:           8
        .value_kind:     global_buffer
      - .offset:         24
        .size:           4
        .value_kind:     by_value
      - .offset:         28
        .size:           4
        .value_kind:     by_value
    .group_segment_fixed_size: 0
    .kernarg_segment_align: 8
    .kernarg_segment_size: 32
    .language:       OpenCL C
    .language_version:
      - 2
      - 0
    .max_flat_workgroup_size: 1024
    .name:           _Z25tv_elementwise_add_kernelILi512EEvPK6__halfS2_PS0_ii
    .private_segment_fixed_size: 0
    .sgpr_count:     9
    .sgpr_spill_count: 0
    .symbol:         _Z25tv_elementwise_add_kernelILi512EEvPK6__halfS2_PS0_ii.kd
    .uniform_work_group_size: 1
    .uses_dynamic_stack: false
    .vgpr_count:     48
    .vgpr_spill_count: 0
    .wavefront_size: 32
  - .args:
      - .actual_access:  read_only
        .address_space:  global
        .offset:         0
        .size:           8
        .value_kind:     global_buffer
      - .actual_access:  read_only
        .address_space:  global
        .offset:         8
        .size:           8
        .value_kind:     global_buffer
      - .actual_access:  write_only
        .address_space:  global
        .offset:         16
        .size:           8
        .value_kind:     global_buffer
      - .offset:         24
        .size:           4
        .value_kind:     by_value
      - .offset:         28
        .size:           4
        .value_kind:     by_value
    .group_segment_fixed_size: 0
    .kernarg_segment_align: 8
    .kernarg_segment_size: 32
    .language:       OpenCL C
    .language_version:
      - 2
      - 0
    .max_flat_workgroup_size: 1024
    .name:           _Z25tv_elementwise_add_kernelILi256EEvPK6__halfS2_PS0_ii
    .private_segment_fixed_size: 0
    .sgpr_count:     9
    .sgpr_spill_count: 0
    .symbol:         _Z25tv_elementwise_add_kernelILi256EEvPK6__halfS2_PS0_ii.kd
    .uniform_work_group_size: 1
    .uses_dynamic_stack: false
    .vgpr_count:     48
    .vgpr_spill_count: 0
    .wavefront_size: 32
amdhsa.target:   amdgcn-amd-amdhsa--gfx1250
amdhsa.version:
  - 1
  - 2
...

	.end_amdgpu_metadata
